;; amdgpu-corpus repo=ROCm/rocFFT kind=compiled arch=gfx1100 opt=O3
	.text
	.amdgcn_target "amdgcn-amd-amdhsa--gfx1100"
	.amdhsa_code_object_version 6
	.protected	fft_rtc_fwd_len2500_factors_10_5_10_5_wgs_250_tpt_250_halfLds_dp_ip_CI_unitstride_sbrr_C2R_dirReg ; -- Begin function fft_rtc_fwd_len2500_factors_10_5_10_5_wgs_250_tpt_250_halfLds_dp_ip_CI_unitstride_sbrr_C2R_dirReg
	.globl	fft_rtc_fwd_len2500_factors_10_5_10_5_wgs_250_tpt_250_halfLds_dp_ip_CI_unitstride_sbrr_C2R_dirReg
	.p2align	8
	.type	fft_rtc_fwd_len2500_factors_10_5_10_5_wgs_250_tpt_250_halfLds_dp_ip_CI_unitstride_sbrr_C2R_dirReg,@function
fft_rtc_fwd_len2500_factors_10_5_10_5_wgs_250_tpt_250_halfLds_dp_ip_CI_unitstride_sbrr_C2R_dirReg: ; @fft_rtc_fwd_len2500_factors_10_5_10_5_wgs_250_tpt_250_halfLds_dp_ip_CI_unitstride_sbrr_C2R_dirReg
; %bb.0:
	s_clause 0x2
	s_load_b128 s[4:7], s[0:1], 0x0
	s_load_b64 s[8:9], s[0:1], 0x50
	s_load_b64 s[10:11], s[0:1], 0x18
	v_mul_u32_u24_e32 v1, 0x107, v0
	v_mov_b32_e32 v3, 0
	v_mov_b32_e32 v4, 0
	s_delay_alu instid0(VALU_DEP_3) | instskip(SKIP_1) | instid1(VALU_DEP_1)
	v_lshrrev_b32_e32 v2, 16, v1
	v_mov_b32_e32 v1, 0
	v_dual_mov_b32 v6, v1 :: v_dual_add_nc_u32 v5, s15, v2
	s_waitcnt lgkmcnt(0)
	v_cmp_lt_u64_e64 s2, s[6:7], 2
	s_delay_alu instid0(VALU_DEP_1)
	s_and_b32 vcc_lo, exec_lo, s2
	s_cbranch_vccnz .LBB0_8
; %bb.1:
	s_load_b64 s[2:3], s[0:1], 0x10
	v_mov_b32_e32 v3, 0
	s_add_u32 s12, s10, 8
	v_mov_b32_e32 v4, 0
	s_addc_u32 s13, s11, 0
	s_mov_b64 s[16:17], 1
	s_waitcnt lgkmcnt(0)
	s_add_u32 s14, s2, 8
	s_addc_u32 s15, s3, 0
.LBB0_2:                                ; =>This Inner Loop Header: Depth=1
	s_load_b64 s[18:19], s[14:15], 0x0
                                        ; implicit-def: $vgpr7_vgpr8
	s_mov_b32 s2, exec_lo
	s_waitcnt lgkmcnt(0)
	v_or_b32_e32 v2, s19, v6
	s_delay_alu instid0(VALU_DEP_1)
	v_cmpx_ne_u64_e32 0, v[1:2]
	s_xor_b32 s3, exec_lo, s2
	s_cbranch_execz .LBB0_4
; %bb.3:                                ;   in Loop: Header=BB0_2 Depth=1
	v_cvt_f32_u32_e32 v2, s18
	v_cvt_f32_u32_e32 v7, s19
	s_sub_u32 s2, 0, s18
	s_subb_u32 s20, 0, s19
	s_delay_alu instid0(VALU_DEP_1) | instskip(NEXT) | instid1(VALU_DEP_1)
	v_fmac_f32_e32 v2, 0x4f800000, v7
	v_rcp_f32_e32 v2, v2
	s_waitcnt_depctr 0xfff
	v_mul_f32_e32 v2, 0x5f7ffffc, v2
	s_delay_alu instid0(VALU_DEP_1) | instskip(NEXT) | instid1(VALU_DEP_1)
	v_mul_f32_e32 v7, 0x2f800000, v2
	v_trunc_f32_e32 v7, v7
	s_delay_alu instid0(VALU_DEP_1) | instskip(SKIP_1) | instid1(VALU_DEP_2)
	v_fmac_f32_e32 v2, 0xcf800000, v7
	v_cvt_u32_f32_e32 v7, v7
	v_cvt_u32_f32_e32 v2, v2
	s_delay_alu instid0(VALU_DEP_2) | instskip(NEXT) | instid1(VALU_DEP_2)
	v_mul_lo_u32 v8, s2, v7
	v_mul_hi_u32 v9, s2, v2
	v_mul_lo_u32 v10, s20, v2
	s_delay_alu instid0(VALU_DEP_2) | instskip(SKIP_1) | instid1(VALU_DEP_2)
	v_add_nc_u32_e32 v8, v9, v8
	v_mul_lo_u32 v9, s2, v2
	v_add_nc_u32_e32 v8, v8, v10
	s_delay_alu instid0(VALU_DEP_2) | instskip(NEXT) | instid1(VALU_DEP_2)
	v_mul_hi_u32 v10, v2, v9
	v_mul_lo_u32 v11, v2, v8
	v_mul_hi_u32 v12, v2, v8
	v_mul_hi_u32 v13, v7, v9
	v_mul_lo_u32 v9, v7, v9
	v_mul_hi_u32 v14, v7, v8
	v_mul_lo_u32 v8, v7, v8
	v_add_co_u32 v10, vcc_lo, v10, v11
	v_add_co_ci_u32_e32 v11, vcc_lo, 0, v12, vcc_lo
	s_delay_alu instid0(VALU_DEP_2) | instskip(NEXT) | instid1(VALU_DEP_2)
	v_add_co_u32 v9, vcc_lo, v10, v9
	v_add_co_ci_u32_e32 v9, vcc_lo, v11, v13, vcc_lo
	v_add_co_ci_u32_e32 v10, vcc_lo, 0, v14, vcc_lo
	s_delay_alu instid0(VALU_DEP_2) | instskip(NEXT) | instid1(VALU_DEP_2)
	v_add_co_u32 v8, vcc_lo, v9, v8
	v_add_co_ci_u32_e32 v9, vcc_lo, 0, v10, vcc_lo
	s_delay_alu instid0(VALU_DEP_2) | instskip(NEXT) | instid1(VALU_DEP_2)
	v_add_co_u32 v2, vcc_lo, v2, v8
	v_add_co_ci_u32_e32 v7, vcc_lo, v7, v9, vcc_lo
	s_delay_alu instid0(VALU_DEP_2) | instskip(SKIP_1) | instid1(VALU_DEP_3)
	v_mul_hi_u32 v8, s2, v2
	v_mul_lo_u32 v10, s20, v2
	v_mul_lo_u32 v9, s2, v7
	s_delay_alu instid0(VALU_DEP_1) | instskip(SKIP_1) | instid1(VALU_DEP_2)
	v_add_nc_u32_e32 v8, v8, v9
	v_mul_lo_u32 v9, s2, v2
	v_add_nc_u32_e32 v8, v8, v10
	s_delay_alu instid0(VALU_DEP_2) | instskip(NEXT) | instid1(VALU_DEP_2)
	v_mul_hi_u32 v10, v2, v9
	v_mul_lo_u32 v11, v2, v8
	v_mul_hi_u32 v12, v2, v8
	v_mul_hi_u32 v13, v7, v9
	v_mul_lo_u32 v9, v7, v9
	v_mul_hi_u32 v14, v7, v8
	v_mul_lo_u32 v8, v7, v8
	v_add_co_u32 v10, vcc_lo, v10, v11
	v_add_co_ci_u32_e32 v11, vcc_lo, 0, v12, vcc_lo
	s_delay_alu instid0(VALU_DEP_2) | instskip(NEXT) | instid1(VALU_DEP_2)
	v_add_co_u32 v9, vcc_lo, v10, v9
	v_add_co_ci_u32_e32 v9, vcc_lo, v11, v13, vcc_lo
	v_add_co_ci_u32_e32 v10, vcc_lo, 0, v14, vcc_lo
	s_delay_alu instid0(VALU_DEP_2) | instskip(NEXT) | instid1(VALU_DEP_2)
	v_add_co_u32 v8, vcc_lo, v9, v8
	v_add_co_ci_u32_e32 v9, vcc_lo, 0, v10, vcc_lo
	s_delay_alu instid0(VALU_DEP_2) | instskip(NEXT) | instid1(VALU_DEP_2)
	v_add_co_u32 v2, vcc_lo, v2, v8
	v_add_co_ci_u32_e32 v13, vcc_lo, v7, v9, vcc_lo
	s_delay_alu instid0(VALU_DEP_2) | instskip(SKIP_1) | instid1(VALU_DEP_3)
	v_mul_hi_u32 v14, v5, v2
	v_mad_u64_u32 v[9:10], null, v6, v2, 0
	v_mad_u64_u32 v[7:8], null, v5, v13, 0
	;; [unrolled: 1-line block ×3, first 2 shown]
	s_delay_alu instid0(VALU_DEP_2) | instskip(NEXT) | instid1(VALU_DEP_3)
	v_add_co_u32 v2, vcc_lo, v14, v7
	v_add_co_ci_u32_e32 v7, vcc_lo, 0, v8, vcc_lo
	s_delay_alu instid0(VALU_DEP_2) | instskip(NEXT) | instid1(VALU_DEP_2)
	v_add_co_u32 v2, vcc_lo, v2, v9
	v_add_co_ci_u32_e32 v2, vcc_lo, v7, v10, vcc_lo
	v_add_co_ci_u32_e32 v7, vcc_lo, 0, v12, vcc_lo
	s_delay_alu instid0(VALU_DEP_2) | instskip(NEXT) | instid1(VALU_DEP_2)
	v_add_co_u32 v2, vcc_lo, v2, v11
	v_add_co_ci_u32_e32 v9, vcc_lo, 0, v7, vcc_lo
	s_delay_alu instid0(VALU_DEP_2) | instskip(SKIP_1) | instid1(VALU_DEP_3)
	v_mul_lo_u32 v10, s19, v2
	v_mad_u64_u32 v[7:8], null, s18, v2, 0
	v_mul_lo_u32 v11, s18, v9
	s_delay_alu instid0(VALU_DEP_2) | instskip(NEXT) | instid1(VALU_DEP_2)
	v_sub_co_u32 v7, vcc_lo, v5, v7
	v_add3_u32 v8, v8, v11, v10
	s_delay_alu instid0(VALU_DEP_1) | instskip(NEXT) | instid1(VALU_DEP_1)
	v_sub_nc_u32_e32 v10, v6, v8
	v_subrev_co_ci_u32_e64 v10, s2, s19, v10, vcc_lo
	v_add_co_u32 v11, s2, v2, 2
	s_delay_alu instid0(VALU_DEP_1) | instskip(SKIP_3) | instid1(VALU_DEP_3)
	v_add_co_ci_u32_e64 v12, s2, 0, v9, s2
	v_sub_co_u32 v13, s2, v7, s18
	v_sub_co_ci_u32_e32 v8, vcc_lo, v6, v8, vcc_lo
	v_subrev_co_ci_u32_e64 v10, s2, 0, v10, s2
	v_cmp_le_u32_e32 vcc_lo, s18, v13
	s_delay_alu instid0(VALU_DEP_3) | instskip(SKIP_1) | instid1(VALU_DEP_4)
	v_cmp_eq_u32_e64 s2, s19, v8
	v_cndmask_b32_e64 v13, 0, -1, vcc_lo
	v_cmp_le_u32_e32 vcc_lo, s19, v10
	v_cndmask_b32_e64 v14, 0, -1, vcc_lo
	v_cmp_le_u32_e32 vcc_lo, s18, v7
	;; [unrolled: 2-line block ×3, first 2 shown]
	v_cndmask_b32_e64 v15, 0, -1, vcc_lo
	v_cmp_eq_u32_e32 vcc_lo, s19, v10
	s_delay_alu instid0(VALU_DEP_2) | instskip(SKIP_3) | instid1(VALU_DEP_3)
	v_cndmask_b32_e64 v7, v15, v7, s2
	v_cndmask_b32_e32 v10, v14, v13, vcc_lo
	v_add_co_u32 v13, vcc_lo, v2, 1
	v_add_co_ci_u32_e32 v14, vcc_lo, 0, v9, vcc_lo
	v_cmp_ne_u32_e32 vcc_lo, 0, v10
	s_delay_alu instid0(VALU_DEP_2) | instskip(NEXT) | instid1(VALU_DEP_4)
	v_cndmask_b32_e32 v8, v14, v12, vcc_lo
	v_cndmask_b32_e32 v10, v13, v11, vcc_lo
	v_cmp_ne_u32_e32 vcc_lo, 0, v7
	s_delay_alu instid0(VALU_DEP_2)
	v_dual_cndmask_b32 v7, v2, v10 :: v_dual_cndmask_b32 v8, v9, v8
.LBB0_4:                                ;   in Loop: Header=BB0_2 Depth=1
	s_and_not1_saveexec_b32 s2, s3
	s_cbranch_execz .LBB0_6
; %bb.5:                                ;   in Loop: Header=BB0_2 Depth=1
	v_cvt_f32_u32_e32 v2, s18
	s_sub_i32 s3, 0, s18
	s_delay_alu instid0(VALU_DEP_1) | instskip(SKIP_2) | instid1(VALU_DEP_1)
	v_rcp_iflag_f32_e32 v2, v2
	s_waitcnt_depctr 0xfff
	v_mul_f32_e32 v2, 0x4f7ffffe, v2
	v_cvt_u32_f32_e32 v2, v2
	s_delay_alu instid0(VALU_DEP_1) | instskip(NEXT) | instid1(VALU_DEP_1)
	v_mul_lo_u32 v7, s3, v2
	v_mul_hi_u32 v7, v2, v7
	s_delay_alu instid0(VALU_DEP_1) | instskip(NEXT) | instid1(VALU_DEP_1)
	v_add_nc_u32_e32 v2, v2, v7
	v_mul_hi_u32 v2, v5, v2
	s_delay_alu instid0(VALU_DEP_1) | instskip(SKIP_1) | instid1(VALU_DEP_2)
	v_mul_lo_u32 v7, v2, s18
	v_add_nc_u32_e32 v8, 1, v2
	v_sub_nc_u32_e32 v7, v5, v7
	s_delay_alu instid0(VALU_DEP_1) | instskip(SKIP_1) | instid1(VALU_DEP_2)
	v_subrev_nc_u32_e32 v9, s18, v7
	v_cmp_le_u32_e32 vcc_lo, s18, v7
	v_dual_cndmask_b32 v7, v7, v9 :: v_dual_cndmask_b32 v2, v2, v8
	s_delay_alu instid0(VALU_DEP_1) | instskip(NEXT) | instid1(VALU_DEP_2)
	v_cmp_le_u32_e32 vcc_lo, s18, v7
	v_add_nc_u32_e32 v8, 1, v2
	s_delay_alu instid0(VALU_DEP_1)
	v_dual_cndmask_b32 v7, v2, v8 :: v_dual_mov_b32 v8, v1
.LBB0_6:                                ;   in Loop: Header=BB0_2 Depth=1
	s_or_b32 exec_lo, exec_lo, s2
	s_load_b64 s[2:3], s[12:13], 0x0
	s_delay_alu instid0(VALU_DEP_1) | instskip(NEXT) | instid1(VALU_DEP_2)
	v_mul_lo_u32 v2, v8, s18
	v_mul_lo_u32 v11, v7, s19
	v_mad_u64_u32 v[9:10], null, v7, s18, 0
	s_add_u32 s16, s16, 1
	s_addc_u32 s17, s17, 0
	s_add_u32 s12, s12, 8
	s_addc_u32 s13, s13, 0
	;; [unrolled: 2-line block ×3, first 2 shown]
	s_delay_alu instid0(VALU_DEP_1) | instskip(SKIP_1) | instid1(VALU_DEP_2)
	v_add3_u32 v2, v10, v11, v2
	v_sub_co_u32 v9, vcc_lo, v5, v9
	v_sub_co_ci_u32_e32 v2, vcc_lo, v6, v2, vcc_lo
	s_waitcnt lgkmcnt(0)
	s_delay_alu instid0(VALU_DEP_2) | instskip(NEXT) | instid1(VALU_DEP_2)
	v_mul_lo_u32 v10, s3, v9
	v_mul_lo_u32 v2, s2, v2
	v_mad_u64_u32 v[5:6], null, s2, v9, v[3:4]
	v_cmp_ge_u64_e64 s2, s[16:17], s[6:7]
	s_delay_alu instid0(VALU_DEP_1) | instskip(NEXT) | instid1(VALU_DEP_2)
	s_and_b32 vcc_lo, exec_lo, s2
	v_add3_u32 v4, v10, v6, v2
	s_delay_alu instid0(VALU_DEP_3)
	v_mov_b32_e32 v3, v5
	s_cbranch_vccnz .LBB0_9
; %bb.7:                                ;   in Loop: Header=BB0_2 Depth=1
	v_dual_mov_b32 v5, v7 :: v_dual_mov_b32 v6, v8
	s_branch .LBB0_2
.LBB0_8:
	v_dual_mov_b32 v8, v6 :: v_dual_mov_b32 v7, v5
.LBB0_9:
	s_lshl_b64 s[2:3], s[6:7], 3
	s_delay_alu instid0(SALU_CYCLE_1)
	s_add_u32 s2, s10, s2
	s_addc_u32 s3, s11, s3
	s_load_b64 s[2:3], s[2:3], 0x0
	s_load_b64 s[0:1], s[0:1], 0x20
	s_waitcnt lgkmcnt(0)
	v_mul_lo_u32 v5, s2, v8
	v_mul_lo_u32 v6, s3, v7
	v_mad_u64_u32 v[1:2], null, s2, v7, v[3:4]
	v_mul_hi_u32 v3, 0x10624de, v0
	v_cmp_gt_u64_e32 vcc_lo, s[0:1], v[7:8]
	s_delay_alu instid0(VALU_DEP_3) | instskip(NEXT) | instid1(VALU_DEP_3)
	v_add3_u32 v2, v6, v2, v5
	v_mul_u32_u24_e32 v3, 0xfa, v3
	s_delay_alu instid0(VALU_DEP_2) | instskip(NEXT) | instid1(VALU_DEP_2)
	v_lshlrev_b64 v[6:7], 4, v[1:2]
	v_sub_nc_u32_e32 v4, v0, v3
	s_and_saveexec_b32 s1, vcc_lo
	s_cbranch_execz .LBB0_13
; %bb.10:
	v_mov_b32_e32 v5, 0
	s_delay_alu instid0(VALU_DEP_3) | instskip(NEXT) | instid1(VALU_DEP_1)
	v_add_co_u32 v0, s0, s8, v6
	v_add_co_ci_u32_e64 v1, s0, s9, v7, s0
	s_delay_alu instid0(VALU_DEP_3) | instskip(SKIP_1) | instid1(VALU_DEP_1)
	v_lshlrev_b64 v[2:3], 4, v[4:5]
	s_mov_b32 s2, exec_lo
	v_add_co_u32 v2, s0, v0, v2
	s_delay_alu instid0(VALU_DEP_1) | instskip(NEXT) | instid1(VALU_DEP_2)
	v_add_co_ci_u32_e64 v3, s0, v1, v3, s0
	v_add_co_u32 v12, s0, 0x1000, v2
	s_delay_alu instid0(VALU_DEP_1) | instskip(SKIP_1) | instid1(VALU_DEP_1)
	v_add_co_ci_u32_e64 v13, s0, 0, v3, s0
	v_add_co_u32 v16, s0, 0x2000, v2
	v_add_co_ci_u32_e64 v17, s0, 0, v3, s0
	v_add_co_u32 v20, s0, 0x3000, v2
	s_delay_alu instid0(VALU_DEP_1) | instskip(SKIP_1) | instid1(VALU_DEP_1)
	v_add_co_ci_u32_e64 v21, s0, 0, v3, s0
	v_add_co_u32 v24, s0, 0x4000, v2
	;; [unrolled: 5-line block ×4, first 2 shown]
	v_add_co_ci_u32_e64 v45, s0, 0, v3, s0
	s_clause 0x9
	global_load_b128 v[8:11], v[2:3], off offset:4000
	global_load_b128 v[12:15], v[12:13], off offset:3904
	global_load_b128 v[16:19], v[16:17], off offset:3808
	global_load_b128 v[20:23], v[20:21], off offset:3712
	global_load_b128 v[24:27], v[24:25], off offset:3616
	global_load_b128 v[28:31], v[28:29], off offset:3520
	global_load_b128 v[32:35], v[32:33], off offset:3424
	global_load_b128 v[36:39], v[36:37], off offset:3328
	global_load_b128 v[40:43], v[2:3], off
	global_load_b128 v[44:47], v[44:45], off offset:3232
	v_lshl_add_u32 v2, v4, 4, 0
	s_waitcnt vmcnt(9)
	ds_store_b128 v2, v[8:11] offset:4000
	s_waitcnt vmcnt(8)
	ds_store_b128 v2, v[12:15] offset:8000
	;; [unrolled: 2-line block ×8, first 2 shown]
	s_waitcnt vmcnt(1)
	ds_store_b128 v2, v[40:43]
	s_waitcnt vmcnt(0)
	ds_store_b128 v2, v[44:47] offset:36000
	v_cmpx_eq_u32_e32 0xf9, v4
	s_cbranch_execz .LBB0_12
; %bb.11:
	v_add_co_u32 v0, s0, 0x9000, v0
	s_delay_alu instid0(VALU_DEP_1)
	v_add_co_ci_u32_e64 v1, s0, 0, v1, s0
	v_mov_b32_e32 v4, 0xf9
	global_load_b128 v[0:3], v[0:1], off offset:3136
	s_waitcnt vmcnt(0)
	ds_store_b128 v5, v[0:3] offset:40000
.LBB0_12:
	s_or_b32 exec_lo, exec_lo, s2
.LBB0_13:
	s_delay_alu instid0(SALU_CYCLE_1) | instskip(NEXT) | instid1(VALU_DEP_1)
	s_or_b32 exec_lo, exec_lo, s1
	v_lshlrev_b32_e32 v0, 4, v4
	s_waitcnt lgkmcnt(0)
	s_barrier
	buffer_gl0_inv
	s_add_u32 s1, s4, 0x9ba0
	v_add_nc_u32_e32 v14, 0, v0
	v_sub_nc_u32_e32 v15, 0, v0
	s_addc_u32 s2, s5, 0
	s_mov_b32 s3, exec_lo
                                        ; implicit-def: $vgpr8_vgpr9
	ds_load_b64 v[10:11], v14
	ds_load_b64 v[12:13], v15 offset:40000
	s_waitcnt lgkmcnt(0)
	v_add_f64 v[0:1], v[10:11], v[12:13]
	v_add_f64 v[2:3], v[10:11], -v[12:13]
	v_cmpx_ne_u32_e32 0, v4
	s_xor_b32 s3, exec_lo, s3
	s_cbranch_execz .LBB0_15
; %bb.14:
	v_mov_b32_e32 v5, 0
	v_add_f64 v[8:9], v[10:11], v[12:13]
	v_add_f64 v[20:21], v[10:11], -v[12:13]
	s_delay_alu instid0(VALU_DEP_3) | instskip(NEXT) | instid1(VALU_DEP_1)
	v_lshlrev_b64 v[0:1], 4, v[4:5]
	v_add_co_u32 v0, s0, s1, v0
	s_delay_alu instid0(VALU_DEP_1)
	v_add_co_ci_u32_e64 v1, s0, s2, v1, s0
	global_load_b128 v[16:19], v[0:1], off
	ds_load_b64 v[0:1], v15 offset:40008
	ds_load_b64 v[2:3], v14 offset:8
	s_waitcnt lgkmcnt(0)
	v_add_f64 v[10:11], v[0:1], v[2:3]
	v_add_f64 v[0:1], v[2:3], -v[0:1]
	s_waitcnt vmcnt(0)
	v_fma_f64 v[2:3], v[20:21], v[18:19], v[8:9]
	v_fma_f64 v[8:9], -v[20:21], v[18:19], v[8:9]
	s_delay_alu instid0(VALU_DEP_3) | instskip(SKIP_1) | instid1(VALU_DEP_4)
	v_fma_f64 v[12:13], v[10:11], v[18:19], -v[0:1]
	v_fma_f64 v[18:19], v[10:11], v[18:19], v[0:1]
	v_fma_f64 v[0:1], -v[10:11], v[16:17], v[2:3]
	s_delay_alu instid0(VALU_DEP_4) | instskip(NEXT) | instid1(VALU_DEP_4)
	v_fma_f64 v[10:11], v[10:11], v[16:17], v[8:9]
	v_fma_f64 v[12:13], v[20:21], v[16:17], v[12:13]
	s_delay_alu instid0(VALU_DEP_4)
	v_fma_f64 v[2:3], v[20:21], v[16:17], v[18:19]
	v_dual_mov_b32 v9, v5 :: v_dual_mov_b32 v8, v4
	ds_store_b128 v15, v[10:13] offset:40000
.LBB0_15:
	s_and_not1_saveexec_b32 s0, s3
	s_cbranch_execz .LBB0_17
; %bb.16:
	v_mov_b32_e32 v5, 0
	ds_load_b128 v[8:11], v5 offset:20000
	s_waitcnt lgkmcnt(0)
	v_add_f64 v[16:17], v[8:9], v[8:9]
	v_mov_b32_e32 v8, 0
	v_mul_f64 v[18:19], v[10:11], -2.0
	v_mov_b32_e32 v9, 0
	ds_store_b128 v5, v[16:19] offset:20000
.LBB0_17:
	s_or_b32 exec_lo, exec_lo, s0
	v_lshlrev_b64 v[8:9], 4, v[8:9]
	ds_store_b128 v14, v[0:3]
	s_mov_b32 s7, 0xbfee6f0e
	s_mov_b32 s10, 0x4755a5e
	;; [unrolled: 1-line block ×4, first 2 shown]
	v_add_co_u32 v28, s0, s1, v8
	s_delay_alu instid0(VALU_DEP_1) | instskip(SKIP_1) | instid1(VALU_DEP_2)
	v_add_co_ci_u32_e64 v29, s0, s2, v9, s0
	s_mov_b32 s2, 0x134454ff
	v_add_co_u32 v12, s0, 0x1000, v28
	global_load_b128 v[8:11], v[28:29], off offset:4000
	v_add_co_ci_u32_e64 v13, s0, 0, v29, s0
	s_mov_b32 s3, 0x3fee6f0e
	s_mov_b32 s6, s2
	;; [unrolled: 1-line block ×3, first 2 shown]
	global_load_b128 v[16:19], v[12:13], off offset:3904
	ds_load_b128 v[0:3], v14 offset:4000
	ds_load_b128 v[20:23], v15 offset:36000
	v_add_co_u32 v12, s0, 0x2000, v28
	s_delay_alu instid0(VALU_DEP_1)
	v_add_co_ci_u32_e64 v13, s0, 0, v29, s0
	s_mov_b32 s14, 0x372fe950
	s_mov_b32 s15, 0x3fd3c6ef
	global_load_b128 v[24:27], v[12:13], off offset:3808
	s_waitcnt lgkmcnt(0)
	v_add_f64 v[12:13], v[0:1], v[20:21]
	v_add_f64 v[30:31], v[22:23], v[2:3]
	v_add_f64 v[20:21], v[0:1], -v[20:21]
	v_add_f64 v[0:1], v[2:3], -v[22:23]
	s_waitcnt vmcnt(2)
	s_delay_alu instid0(VALU_DEP_2) | instskip(NEXT) | instid1(VALU_DEP_2)
	v_fma_f64 v[2:3], v[20:21], v[10:11], v[12:13]
	v_fma_f64 v[22:23], v[30:31], v[10:11], v[0:1]
	v_fma_f64 v[12:13], -v[20:21], v[10:11], v[12:13]
	v_fma_f64 v[32:33], v[30:31], v[10:11], -v[0:1]
	s_delay_alu instid0(VALU_DEP_4) | instskip(NEXT) | instid1(VALU_DEP_4)
	v_fma_f64 v[0:1], -v[30:31], v[8:9], v[2:3]
	v_fma_f64 v[2:3], v[20:21], v[8:9], v[22:23]
	s_delay_alu instid0(VALU_DEP_4) | instskip(NEXT) | instid1(VALU_DEP_4)
	v_fma_f64 v[10:11], v[30:31], v[8:9], v[12:13]
	v_fma_f64 v[12:13], v[20:21], v[8:9], v[32:33]
	ds_store_b128 v14, v[0:3] offset:4000
	ds_store_b128 v15, v[10:13] offset:36000
	ds_load_b128 v[0:3], v14 offset:8000
	ds_load_b128 v[8:11], v15 offset:32000
	v_add_co_u32 v12, s0, 0x3000, v28
	s_delay_alu instid0(VALU_DEP_1)
	v_add_co_ci_u32_e64 v13, s0, 0, v29, s0
	s_mov_b32 s0, 0x9b97f4a8
	s_mov_b32 s1, 0x3fe9e377
	global_load_b128 v[20:23], v[12:13], off offset:3712
	s_waitcnt lgkmcnt(0)
	v_add_f64 v[12:13], v[0:1], v[8:9]
	v_add_f64 v[28:29], v[10:11], v[2:3]
	v_add_f64 v[30:31], v[0:1], -v[8:9]
	v_add_f64 v[0:1], v[2:3], -v[10:11]
	s_waitcnt vmcnt(2)
	s_delay_alu instid0(VALU_DEP_2) | instskip(NEXT) | instid1(VALU_DEP_2)
	v_fma_f64 v[2:3], v[30:31], v[18:19], v[12:13]
	v_fma_f64 v[8:9], v[28:29], v[18:19], v[0:1]
	v_fma_f64 v[10:11], -v[30:31], v[18:19], v[12:13]
	v_fma_f64 v[12:13], v[28:29], v[18:19], -v[0:1]
	s_delay_alu instid0(VALU_DEP_4) | instskip(NEXT) | instid1(VALU_DEP_4)
	v_fma_f64 v[0:1], -v[28:29], v[16:17], v[2:3]
	v_fma_f64 v[2:3], v[30:31], v[16:17], v[8:9]
	s_delay_alu instid0(VALU_DEP_4) | instskip(NEXT) | instid1(VALU_DEP_4)
	v_fma_f64 v[8:9], v[28:29], v[16:17], v[10:11]
	v_fma_f64 v[10:11], v[30:31], v[16:17], v[12:13]
	ds_store_b128 v14, v[0:3] offset:8000
	ds_store_b128 v15, v[8:11] offset:32000
	ds_load_b128 v[0:3], v14 offset:12000
	ds_load_b128 v[8:11], v15 offset:28000
	s_waitcnt lgkmcnt(0)
	v_add_f64 v[12:13], v[0:1], v[8:9]
	v_add_f64 v[16:17], v[10:11], v[2:3]
	v_add_f64 v[18:19], v[0:1], -v[8:9]
	v_add_f64 v[0:1], v[2:3], -v[10:11]
	s_waitcnt vmcnt(1)
	s_delay_alu instid0(VALU_DEP_2) | instskip(NEXT) | instid1(VALU_DEP_2)
	v_fma_f64 v[2:3], v[18:19], v[26:27], v[12:13]
	v_fma_f64 v[8:9], v[16:17], v[26:27], v[0:1]
	v_fma_f64 v[10:11], -v[18:19], v[26:27], v[12:13]
	v_fma_f64 v[12:13], v[16:17], v[26:27], -v[0:1]
	s_delay_alu instid0(VALU_DEP_4) | instskip(NEXT) | instid1(VALU_DEP_4)
	v_fma_f64 v[0:1], -v[16:17], v[24:25], v[2:3]
	v_fma_f64 v[2:3], v[18:19], v[24:25], v[8:9]
	s_delay_alu instid0(VALU_DEP_4) | instskip(NEXT) | instid1(VALU_DEP_4)
	v_fma_f64 v[8:9], v[16:17], v[24:25], v[10:11]
	v_fma_f64 v[10:11], v[18:19], v[24:25], v[12:13]
	ds_store_b128 v14, v[0:3] offset:12000
	ds_store_b128 v15, v[8:11] offset:28000
	ds_load_b128 v[0:3], v14 offset:16000
	ds_load_b128 v[8:11], v15 offset:24000
	s_waitcnt lgkmcnt(0)
	v_add_f64 v[12:13], v[0:1], v[8:9]
	v_add_f64 v[16:17], v[10:11], v[2:3]
	v_add_f64 v[18:19], v[0:1], -v[8:9]
	v_add_f64 v[0:1], v[2:3], -v[10:11]
	s_waitcnt vmcnt(0)
	s_delay_alu instid0(VALU_DEP_2) | instskip(NEXT) | instid1(VALU_DEP_2)
	v_fma_f64 v[2:3], v[18:19], v[22:23], v[12:13]
	v_fma_f64 v[8:9], v[16:17], v[22:23], v[0:1]
	v_fma_f64 v[10:11], -v[18:19], v[22:23], v[12:13]
	v_fma_f64 v[12:13], v[16:17], v[22:23], -v[0:1]
	s_delay_alu instid0(VALU_DEP_4) | instskip(NEXT) | instid1(VALU_DEP_4)
	v_fma_f64 v[0:1], -v[16:17], v[20:21], v[2:3]
	v_fma_f64 v[2:3], v[18:19], v[20:21], v[8:9]
	s_delay_alu instid0(VALU_DEP_4) | instskip(NEXT) | instid1(VALU_DEP_4)
	v_fma_f64 v[8:9], v[16:17], v[20:21], v[10:11]
	v_fma_f64 v[10:11], v[18:19], v[20:21], v[12:13]
	ds_store_b128 v14, v[0:3] offset:16000
	ds_store_b128 v15, v[8:11] offset:24000
	s_waitcnt lgkmcnt(0)
	s_barrier
	buffer_gl0_inv
	s_barrier
	buffer_gl0_inv
	ds_load_b128 v[0:3], v14 offset:20000
	ds_load_b128 v[8:11], v14 offset:28000
	ds_load_b128 v[15:18], v14 offset:36000
	ds_load_b128 v[19:22], v14 offset:12000
	ds_load_b128 v[23:26], v14 offset:16000
	ds_load_b128 v[27:30], v14 offset:24000
	ds_load_b128 v[31:34], v14 offset:32000
	ds_load_b128 v[35:38], v14 offset:4000
	ds_load_b128 v[39:42], v14 offset:8000
	s_waitcnt lgkmcnt(7)
	v_add_f64 v[12:13], v[0:1], v[8:9]
	v_add_f64 v[47:48], v[2:3], v[10:11]
	s_waitcnt lgkmcnt(5)
	v_add_f64 v[43:44], v[21:22], v[17:18]
	v_add_f64 v[45:46], v[19:20], v[15:16]
	v_add_f64 v[49:50], v[21:22], -v[17:18]
	v_add_f64 v[51:52], v[2:3], -v[10:11]
	;; [unrolled: 1-line block ×4, first 2 shown]
	s_waitcnt lgkmcnt(3)
	v_add_f64 v[61:62], v[23:24], v[27:28]
	s_waitcnt lgkmcnt(0)
	v_add_f64 v[63:64], v[39:40], v[31:32]
	v_add_f64 v[65:66], v[25:26], v[29:30]
	v_add_f64 v[69:70], v[19:20], -v[0:1]
	v_add_f64 v[71:72], v[15:16], -v[8:9]
	;; [unrolled: 1-line block ×4, first 2 shown]
	v_add_f64 v[67:68], v[41:42], v[33:34]
	v_add_f64 v[73:74], v[8:9], -v[15:16]
	v_add_f64 v[85:86], v[17:18], -v[10:11]
	v_fma_f64 v[12:13], v[12:13], -0.5, v[35:36]
	v_fma_f64 v[47:48], v[47:48], -0.5, v[37:38]
	;; [unrolled: 1-line block ×4, first 2 shown]
	v_add_f64 v[37:38], v[37:38], v[21:22]
	v_add_f64 v[21:22], v[2:3], -v[21:22]
	v_add_f64 v[35:36], v[35:36], v[19:20]
	v_add_f64 v[19:20], v[0:1], -v[19:20]
	ds_load_b128 v[43:46], v14
	s_waitcnt lgkmcnt(0)
	s_barrier
	buffer_gl0_inv
	v_add_f64 v[69:70], v[69:70], v[71:72]
	v_add_f64 v[71:72], v[39:40], -v[31:32]
	v_add_f64 v[89:90], v[43:44], v[39:40]
	v_add_f64 v[91:92], v[45:46], v[41:42]
	v_fma_f64 v[61:62], v[61:62], -0.5, v[43:44]
	v_fma_f64 v[43:44], v[63:64], -0.5, v[43:44]
	;; [unrolled: 1-line block ×3, first 2 shown]
	v_add_f64 v[65:66], v[41:42], -v[33:34]
	v_fma_f64 v[45:46], v[67:68], -0.5, v[45:46]
	v_add_f64 v[67:68], v[25:26], -v[29:30]
	v_fma_f64 v[79:80], v[49:50], s[2:3], v[12:13]
	v_fma_f64 v[12:13], v[49:50], s[6:7], v[12:13]
	;; [unrolled: 1-line block ×8, first 2 shown]
	v_add_f64 v[21:22], v[21:22], v[77:78]
	v_add_f64 v[19:20], v[19:20], v[73:74]
	v_add_f64 v[73:74], v[23:24], -v[27:28]
	v_add_f64 v[0:1], v[35:36], v[0:1]
	v_add_f64 v[2:3], v[37:38], v[2:3]
	v_fma_f64 v[35:36], v[65:66], s[2:3], v[61:62]
	v_fma_f64 v[37:38], v[65:66], s[6:7], v[61:62]
	;; [unrolled: 1-line block ×10, first 2 shown]
	v_add_f64 v[51:52], v[75:76], v[85:86]
	v_fma_f64 v[57:58], v[53:54], s[10:11], v[87:88]
	v_add_f64 v[59:60], v[39:40], -v[23:24]
	v_add_f64 v[39:40], v[23:24], -v[39:40]
	;; [unrolled: 1-line block ×4, first 2 shown]
	v_add_f64 v[23:24], v[89:90], v[23:24]
	v_add_f64 v[25:26], v[91:92], v[25:26]
	v_add_f64 v[75:76], v[31:32], -v[27:28]
	v_add_f64 v[87:88], v[33:34], -v[29:30]
	v_fma_f64 v[91:92], v[71:72], s[6:7], v[63:64]
	v_fma_f64 v[63:64], v[71:72], s[2:3], v[63:64]
	;; [unrolled: 1-line block ×3, first 2 shown]
	v_add_f64 v[83:84], v[27:28], -v[31:32]
	v_add_f64 v[89:90], v[29:30], -v[33:34]
	v_fma_f64 v[53:54], v[73:74], s[2:3], v[45:46]
	v_fma_f64 v[45:46], v[73:74], s[6:7], v[45:46]
	v_add_f64 v[0:1], v[0:1], v[8:9]
	v_add_f64 v[2:3], v[2:3], v[10:11]
	v_fma_f64 v[8:9], v[67:68], s[10:11], v[35:36]
	v_fma_f64 v[10:11], v[67:68], s[12:13], v[37:38]
	;; [unrolled: 1-line block ×9, first 2 shown]
	v_add_f64 v[23:24], v[23:24], v[27:28]
	v_add_f64 v[25:26], v[25:26], v[29:30]
	;; [unrolled: 1-line block ×4, first 2 shown]
	v_fma_f64 v[35:36], v[73:74], s[12:13], v[91:92]
	v_fma_f64 v[37:38], v[73:74], s[10:11], v[63:64]
	;; [unrolled: 1-line block ×3, first 2 shown]
	v_add_f64 v[39:40], v[39:40], v[83:84]
	v_add_f64 v[41:42], v[41:42], v[89:90]
	v_fma_f64 v[27:28], v[65:66], s[10:11], v[61:62]
	v_fma_f64 v[29:30], v[65:66], s[12:13], v[43:44]
	;; [unrolled: 1-line block ×4, first 2 shown]
	v_add_f64 v[0:1], v[0:1], v[15:16]
	v_add_f64 v[17:18], v[2:3], v[17:18]
	v_and_b32_e32 v3, 0xff, v4
	s_delay_alu instid0(VALU_DEP_1)
	v_mul_lo_u16 v2, 0xcd, v3
	v_mul_lo_u16 v3, v3, 41
	v_mul_f64 v[51:52], v[77:78], s[0:1]
	v_mul_f64 v[63:64], v[77:78], s[12:13]
	;; [unrolled: 1-line block ×8, first 2 shown]
	v_lshrrev_b16 v3, 11, v3
	v_add_f64 v[23:24], v[23:24], v[31:32]
	v_add_f64 v[25:26], v[25:26], v[33:34]
	v_fma_f64 v[71:72], v[55:56], s[14:15], v[8:9]
	v_fma_f64 v[55:56], v[55:56], s[14:15], v[10:11]
	;; [unrolled: 1-line block ×11, first 2 shown]
	v_fma_f64 v[41:42], v[21:22], s[2:3], -v[59:60]
	v_fma_f64 v[53:54], v[79:80], s[14:15], v[65:66]
	v_fma_f64 v[59:60], v[81:82], s[6:7], -v[67:68]
	v_fma_f64 v[49:50], v[49:50], s[10:11], -v[61:62]
	;; [unrolled: 1-line block ×3, first 2 shown]
	v_add_f64 v[8:9], v[23:24], v[0:1]
	v_add_f64 v[10:11], v[25:26], v[17:18]
	v_add_f64 v[15:16], v[23:24], -v[0:1]
	v_add_f64 v[17:18], v[25:26], -v[17:18]
	v_lshrrev_b16 v1, 11, v2
	v_mad_u32_u24 v2, 0x90, v4, v14
	s_delay_alu instid0(VALU_DEP_2) | instskip(SKIP_1) | instid1(VALU_DEP_2)
	v_mul_lo_u16 v0, v1, 10
	v_and_b32_e32 v1, 0xffff, v1
	v_sub_nc_u16 v0, v4, v0
	s_delay_alu instid0(VALU_DEP_2) | instskip(NEXT) | instid1(VALU_DEP_2)
	v_mul_u32_u24_e32 v1, 0x320, v1
	v_and_b32_e32 v0, 0xff, v0
	s_delay_alu instid0(VALU_DEP_1)
	v_lshlrev_b32_e32 v5, 6, v0
	v_lshlrev_b32_e32 v0, 4, v0
	v_add_f64 v[19:20], v[71:72], v[35:36]
	v_add_f64 v[21:22], v[77:78], v[51:52]
	;; [unrolled: 1-line block ×8, first 2 shown]
	v_add_f64 v[35:36], v[71:72], -v[35:36]
	v_add_f64 v[39:40], v[73:74], -v[37:38]
	;; [unrolled: 1-line block ×8, first 2 shown]
	v_add3_u32 v0, 0, v1, v0
	ds_store_b128 v2, v[8:11]
	ds_store_b128 v2, v[19:22] offset:16
	ds_store_b128 v2, v[23:26] offset:32
	;; [unrolled: 1-line block ×9, first 2 shown]
	v_add_nc_u32_e32 v2, 0xfa, v4
	s_waitcnt lgkmcnt(0)
	s_barrier
	buffer_gl0_inv
	s_clause 0x2
	global_load_b128 v[8:11], v5, s[4:5]
	global_load_b128 v[15:18], v5, s[4:5] offset:16
	global_load_b128 v[19:22], v5, s[4:5] offset:32
	v_and_b32_e32 v12, 0xffff, v2
	s_delay_alu instid0(VALU_DEP_1) | instskip(NEXT) | instid1(VALU_DEP_1)
	v_mul_u32_u24_e32 v12, 0xcccd, v12
	v_lshrrev_b32_e32 v91, 19, v12
	s_delay_alu instid0(VALU_DEP_1) | instskip(NEXT) | instid1(VALU_DEP_1)
	v_mul_lo_u16 v12, v91, 10
	v_sub_nc_u16 v12, v2, v12
	s_delay_alu instid0(VALU_DEP_1) | instskip(NEXT) | instid1(VALU_DEP_1)
	v_and_b32_e32 v92, 0xffff, v12
	v_lshlrev_b32_e32 v12, 6, v92
	s_clause 0x4
	global_load_b128 v[23:26], v5, s[4:5] offset:48
	global_load_b128 v[27:30], v12, s[4:5]
	global_load_b128 v[31:34], v12, s[4:5] offset:16
	global_load_b128 v[35:38], v12, s[4:5] offset:32
	global_load_b128 v[39:42], v12, s[4:5] offset:48
	ds_load_b128 v[43:46], v14 offset:8000
	ds_load_b128 v[47:50], v14 offset:16000
	;; [unrolled: 1-line block ×4, first 2 shown]
	v_mul_lo_u16 v5, v3, 50
	v_and_b32_e32 v3, 0xffff, v3
	ds_load_b128 v[59:62], v14 offset:20000
	v_sub_nc_u16 v5, v4, v5
	s_delay_alu instid0(VALU_DEP_1)
	v_and_b32_e32 v5, 0xff, v5
	s_waitcnt vmcnt(7) lgkmcnt(4)
	v_mul_f64 v[75:76], v[45:46], v[10:11]
	v_mul_f64 v[77:78], v[43:44], v[10:11]
	s_waitcnt vmcnt(6) lgkmcnt(3)
	v_mul_f64 v[79:80], v[49:50], v[17:18]
	v_mul_f64 v[17:18], v[47:48], v[17:18]
	;; [unrolled: 3-line block ×3, first 2 shown]
	ds_load_b128 v[10:13], v14 offset:12000
	ds_load_b128 v[63:66], v14 offset:32000
	ds_load_b128 v[67:70], v14 offset:28000
	ds_load_b128 v[71:74], v14 offset:36000
	s_waitcnt vmcnt(4) lgkmcnt(2)
	v_mul_f64 v[83:84], v[65:66], v[25:26]
	v_fma_f64 v[43:44], v[43:44], v[8:9], -v[75:76]
	v_fma_f64 v[45:46], v[45:46], v[8:9], v[77:78]
	v_mul_f64 v[8:9], v[63:64], v[25:26]
	s_waitcnt vmcnt(3)
	v_mul_f64 v[25:26], v[12:13], v[29:30]
	v_mul_f64 v[29:30], v[10:11], v[29:30]
	s_waitcnt vmcnt(2)
	v_mul_f64 v[75:76], v[61:62], v[33:34]
	v_fma_f64 v[47:48], v[47:48], v[15:16], -v[79:80]
	v_fma_f64 v[15:16], v[49:50], v[15:16], v[17:18]
	v_mul_f64 v[17:18], v[59:60], v[33:34]
	s_waitcnt vmcnt(1) lgkmcnt(1)
	v_mul_f64 v[33:34], v[69:70], v[37:38]
	v_mul_f64 v[37:38], v[67:68], v[37:38]
	s_waitcnt vmcnt(0) lgkmcnt(0)
	v_mul_f64 v[49:50], v[73:74], v[41:42]
	v_fma_f64 v[51:52], v[51:52], v[19:20], -v[81:82]
	v_fma_f64 v[19:20], v[53:54], v[19:20], v[21:22]
	v_mul_f64 v[21:22], v[71:72], v[41:42]
	v_fma_f64 v[41:42], v[63:64], v[23:24], -v[83:84]
	v_fma_f64 v[23:24], v[65:66], v[23:24], v[8:9]
	v_fma_f64 v[25:26], v[10:11], v[27:28], -v[25:26]
	v_fma_f64 v[12:13], v[12:13], v[27:28], v[29:30]
	v_fma_f64 v[27:28], v[59:60], v[31:32], -v[75:76]
	ds_load_b128 v[8:11], v14
	v_add_f64 v[65:66], v[43:44], -v[47:48]
	v_fma_f64 v[17:18], v[61:62], v[31:32], v[17:18]
	v_fma_f64 v[29:30], v[67:68], v[35:36], -v[33:34]
	v_fma_f64 v[33:34], v[69:70], v[35:36], v[37:38]
	v_fma_f64 v[31:32], v[71:72], v[39:40], -v[49:50]
	v_add_f64 v[35:36], v[47:48], v[51:52]
	v_add_f64 v[69:70], v[47:48], -v[43:44]
	v_fma_f64 v[21:22], v[73:74], v[39:40], v[21:22]
	v_add_f64 v[39:40], v[15:16], v[19:20]
	v_add_f64 v[73:74], v[45:46], -v[15:16]
	v_add_f64 v[83:84], v[15:16], -v[45:46]
	s_waitcnt lgkmcnt(0)
	s_barrier
	buffer_gl0_inv
	v_add_f64 v[77:78], v[8:9], v[43:44]
	v_add_f64 v[79:80], v[10:11], v[45:46]
	;; [unrolled: 1-line block ×3, first 2 shown]
	v_add_f64 v[67:68], v[41:42], -v[51:52]
	v_add_f64 v[71:72], v[51:52], -v[41:42]
	;; [unrolled: 1-line block ×3, first 2 shown]
	v_add_f64 v[49:50], v[45:46], v[23:24]
	v_add_f64 v[75:76], v[23:24], -v[19:20]
	v_add_f64 v[81:82], v[55:56], v[25:26]
	v_add_f64 v[85:86], v[19:20], -v[23:24]
	v_add_f64 v[45:46], v[45:46], -v[23:24]
	;; [unrolled: 1-line block ×3, first 2 shown]
	v_add_f64 v[53:54], v[27:28], v[29:30]
	v_add_f64 v[61:62], v[17:18], v[33:34]
	;; [unrolled: 1-line block ×3, first 2 shown]
	v_fma_f64 v[35:36], v[35:36], -0.5, v[8:9]
	v_add_f64 v[89:90], v[31:32], -v[29:30]
	v_add_f64 v[63:64], v[12:13], v[21:22]
	v_add_f64 v[77:78], v[77:78], v[47:48]
	;; [unrolled: 1-line block ×3, first 2 shown]
	v_add_f64 v[15:16], v[15:16], -v[19:20]
	v_add_f64 v[47:48], v[47:48], -v[51:52]
	v_fma_f64 v[8:9], v[37:38], -0.5, v[8:9]
	v_fma_f64 v[37:38], v[39:40], -0.5, v[10:11]
	v_add_f64 v[39:40], v[27:28], -v[25:26]
	v_add_f64 v[65:66], v[65:66], v[67:68]
	v_add_f64 v[67:68], v[21:22], -v[33:34]
	v_add_f64 v[69:70], v[69:70], v[71:72]
	v_add_f64 v[71:72], v[17:18], -v[12:13]
	v_fma_f64 v[10:11], v[49:50], -0.5, v[10:11]
	v_add_f64 v[49:50], v[29:30], -v[31:32]
	v_add_f64 v[73:74], v[73:74], v[75:76]
	v_add_f64 v[75:76], v[33:34], -v[21:22]
	v_add_f64 v[81:82], v[81:82], v[27:28]
	v_add_f64 v[83:84], v[83:84], v[85:86]
	v_add_f64 v[85:86], v[17:18], -v[33:34]
	v_fma_f64 v[53:54], v[53:54], -0.5, v[55:56]
	v_add_f64 v[25:26], v[25:26], -v[31:32]
	v_fma_f64 v[55:56], v[59:60], -0.5, v[55:56]
	v_fma_f64 v[59:60], v[61:62], -0.5, v[57:58]
	v_add_f64 v[27:28], v[27:28], -v[29:30]
	v_fma_f64 v[61:62], v[63:64], -0.5, v[57:58]
	v_add_f64 v[57:58], v[57:58], v[12:13]
	v_add_f64 v[63:64], v[12:13], -v[17:18]
	v_add_f64 v[12:13], v[12:13], -v[21:22]
	v_add_f64 v[87:88], v[87:88], v[89:90]
	v_add_f64 v[19:20], v[79:80], v[19:20]
	;; [unrolled: 1-line block ×4, first 2 shown]
	v_fma_f64 v[51:52], v[45:46], s[2:3], v[35:36]
	v_fma_f64 v[35:36], v[45:46], s[6:7], v[35:36]
	v_add_f64 v[29:30], v[81:82], v[29:30]
	v_fma_f64 v[79:80], v[85:86], s[6:7], v[55:56]
	v_fma_f64 v[55:56], v[85:86], s[2:3], v[55:56]
	;; [unrolled: 1-line block ×4, first 2 shown]
	v_add_f64 v[17:18], v[57:58], v[17:18]
	v_add_f64 v[57:58], v[63:64], v[67:68]
	;; [unrolled: 1-line block ×3, first 2 shown]
	v_fma_f64 v[67:68], v[15:16], s[6:7], v[8:9]
	v_fma_f64 v[71:72], v[43:44], s[6:7], v[37:38]
	;; [unrolled: 1-line block ×11, first 2 shown]
	v_add_f64 v[17:18], v[17:18], v[33:34]
	v_fma_f64 v[33:34], v[15:16], s[10:11], v[51:52]
	v_add_f64 v[15:16], v[29:30], v[31:32]
	v_fma_f64 v[51:52], v[45:46], s[10:11], v[67:68]
	v_fma_f64 v[67:68], v[47:48], s[12:13], v[71:72]
	;; [unrolled: 1-line block ×14, first 2 shown]
	v_add_f64 v[8:9], v[39:40], v[41:42]
	v_add_f64 v[10:11], v[19:20], v[23:24]
	v_fma_f64 v[23:24], v[65:66], s[14:15], v[35:36]
	v_add_f64 v[17:18], v[17:18], v[21:22]
	v_fma_f64 v[19:20], v[65:66], s[14:15], v[33:34]
	v_fma_f64 v[27:28], v[69:70], s[14:15], v[51:52]
	;; [unrolled: 1-line block ×15, first 2 shown]
	v_mul_u32_u24_e32 v13, 9, v5
	v_mul_u32_u24_e32 v12, 0x320, v91
	v_lshlrev_b32_e32 v51, 4, v92
	s_delay_alu instid0(VALU_DEP_3) | instskip(NEXT) | instid1(VALU_DEP_2)
	v_lshlrev_b32_e32 v1, 4, v13
	v_add3_u32 v12, 0, v12, v51
	ds_store_b128 v0, v[8:11]
	ds_store_b128 v0, v[19:22] offset:160
	ds_store_b128 v0, v[27:30] offset:320
	;; [unrolled: 1-line block ×4, first 2 shown]
	ds_store_b128 v12, v[15:18]
	ds_store_b128 v12, v[35:38] offset:160
	ds_store_b128 v12, v[43:46] offset:320
	;; [unrolled: 1-line block ×4, first 2 shown]
	s_waitcnt lgkmcnt(0)
	s_barrier
	buffer_gl0_inv
	s_clause 0x8
	global_load_b128 v[8:11], v1, s[4:5] offset:672
	global_load_b128 v[15:18], v1, s[4:5] offset:704
	global_load_b128 v[19:22], v1, s[4:5] offset:736
	global_load_b128 v[23:26], v1, s[4:5] offset:768
	global_load_b128 v[27:30], v1, s[4:5] offset:640
	global_load_b128 v[31:34], v1, s[4:5] offset:656
	global_load_b128 v[35:38], v1, s[4:5] offset:688
	global_load_b128 v[39:42], v1, s[4:5] offset:720
	global_load_b128 v[43:46], v1, s[4:5] offset:752
	ds_load_b128 v[47:50], v14 offset:12000
	ds_load_b128 v[51:54], v14 offset:16000
	s_waitcnt vmcnt(8) lgkmcnt(1)
	v_mul_f64 v[0:1], v[49:50], v[10:11]
	v_mul_f64 v[79:80], v[47:48], v[10:11]
	ds_load_b128 v[10:13], v14 offset:20000
	ds_load_b128 v[55:58], v14 offset:28000
	ds_load_b128 v[59:62], v14 offset:36000
	ds_load_b128 v[63:66], v14 offset:24000
	ds_load_b128 v[67:70], v14 offset:32000
	ds_load_b128 v[71:74], v14 offset:4000
	ds_load_b128 v[75:78], v14 offset:8000
	s_waitcnt vmcnt(7) lgkmcnt(6)
	v_mul_f64 v[81:82], v[12:13], v[17:18]
	v_mul_f64 v[17:18], v[10:11], v[17:18]
	s_waitcnt vmcnt(6) lgkmcnt(5)
	v_mul_f64 v[83:84], v[57:58], v[21:22]
	v_mul_f64 v[21:22], v[55:56], v[21:22]
	s_waitcnt vmcnt(5) lgkmcnt(4)
	v_mul_f64 v[85:86], v[59:60], v[25:26]
	v_fma_f64 v[0:1], v[47:48], v[8:9], -v[0:1]
	v_fma_f64 v[47:48], v[49:50], v[8:9], v[79:80]
	v_mul_f64 v[8:9], v[61:62], v[25:26]
	s_waitcnt vmcnt(4) lgkmcnt(1)
	v_mul_f64 v[25:26], v[73:74], v[29:30]
	s_waitcnt vmcnt(3) lgkmcnt(0)
	v_mul_f64 v[49:50], v[77:78], v[33:34]
	s_waitcnt vmcnt(2)
	v_mul_f64 v[79:80], v[53:54], v[37:38]
	v_mul_f64 v[29:30], v[71:72], v[29:30]
	v_fma_f64 v[81:82], v[10:11], v[15:16], -v[81:82]
	v_fma_f64 v[12:13], v[12:13], v[15:16], v[17:18]
	v_mul_f64 v[10:11], v[51:52], v[37:38]
	s_waitcnt vmcnt(1)
	v_mul_f64 v[15:16], v[65:66], v[41:42]
	v_mul_f64 v[17:18], v[63:64], v[41:42]
	s_waitcnt vmcnt(0)
	v_mul_f64 v[37:38], v[69:70], v[45:46]
	v_fma_f64 v[41:42], v[55:56], v[19:20], -v[83:84]
	v_fma_f64 v[19:20], v[57:58], v[19:20], v[21:22]
	v_mul_f64 v[21:22], v[75:76], v[33:34]
	v_mul_f64 v[33:34], v[67:68], v[45:46]
	v_fma_f64 v[45:46], v[61:62], v[23:24], v[85:86]
	v_fma_f64 v[23:24], v[59:60], v[23:24], -v[8:9]
	v_fma_f64 v[25:26], v[71:72], v[27:28], -v[25:26]
	;; [unrolled: 1-line block ×4, first 2 shown]
	v_fma_f64 v[27:28], v[73:74], v[27:28], v[29:30]
	v_add_f64 v[73:74], v[0:1], -v[81:82]
	v_add_f64 v[79:80], v[47:48], -v[12:13]
	v_fma_f64 v[35:36], v[53:54], v[35:36], v[10:11]
	v_fma_f64 v[15:16], v[63:64], v[39:40], -v[15:16]
	v_fma_f64 v[17:18], v[65:66], v[39:40], v[17:18]
	v_fma_f64 v[37:38], v[67:68], v[43:44], -v[37:38]
	v_add_f64 v[67:68], v[81:82], -v[41:42]
	v_add_f64 v[29:30], v[12:13], v[19:20]
	v_fma_f64 v[21:22], v[77:78], v[31:32], v[21:22]
	v_add_f64 v[31:32], v[81:82], v[41:42]
	v_fma_f64 v[33:34], v[69:70], v[43:44], v[33:34]
	v_add_f64 v[39:40], v[47:48], v[45:46]
	v_add_f64 v[59:60], v[47:48], -v[45:46]
	v_add_f64 v[63:64], v[12:13], -v[19:20]
	ds_load_b128 v[8:11], v14
	v_add_f64 v[83:84], v[45:46], -v[19:20]
	v_add_f64 v[85:86], v[12:13], -v[47:48]
	v_add_f64 v[87:88], v[19:20], -v[45:46]
	s_waitcnt lgkmcnt(0)
	s_barrier
	buffer_gl0_inv
	v_add_f64 v[43:44], v[0:1], v[23:24]
	v_add_f64 v[65:66], v[0:1], -v[23:24]
	v_add_f64 v[75:76], v[23:24], -v[41:42]
	;; [unrolled: 1-line block ×3, first 2 shown]
	v_add_f64 v[69:70], v[8:9], v[49:50]
	v_add_f64 v[53:54], v[51:52], v[15:16]
	;; [unrolled: 1-line block ×4, first 2 shown]
	v_fma_f64 v[29:30], v[29:30], -0.5, v[27:28]
	v_add_f64 v[71:72], v[10:11], v[21:22]
	v_fma_f64 v[31:32], v[31:32], -0.5, v[25:26]
	v_add_f64 v[61:62], v[21:22], v[33:34]
	;; [unrolled: 2-line block ×3, first 2 shown]
	v_add_f64 v[47:48], v[21:22], -v[33:34]
	v_add_f64 v[79:80], v[79:80], v[83:84]
	v_add_f64 v[83:84], v[85:86], v[87:88]
	v_add_f64 v[87:88], v[21:22], -v[35:36]
	v_add_f64 v[21:22], v[35:36], -v[21:22]
	v_fma_f64 v[43:44], v[43:44], -0.5, v[25:26]
	v_add_f64 v[25:26], v[25:26], v[0:1]
	v_add_f64 v[0:1], v[81:82], -v[0:1]
	v_add_f64 v[73:74], v[73:74], v[75:76]
	v_add_f64 v[75:76], v[35:36], -v[17:18]
	v_fma_f64 v[53:54], v[53:54], -0.5, v[8:9]
	v_fma_f64 v[8:9], v[55:56], -0.5, v[8:9]
	;; [unrolled: 1-line block ×3, first 2 shown]
	v_fma_f64 v[57:58], v[65:66], s[6:7], v[29:30]
	v_fma_f64 v[29:30], v[65:66], s[2:3], v[29:30]
	;; [unrolled: 1-line block ×3, first 2 shown]
	v_fma_f64 v[10:11], v[61:62], -0.5, v[10:11]
	v_fma_f64 v[61:62], v[67:68], s[2:3], v[39:40]
	v_fma_f64 v[31:32], v[59:60], s[6:7], v[31:32]
	;; [unrolled: 1-line block ×3, first 2 shown]
	v_add_f64 v[35:36], v[71:72], v[35:36]
	v_add_f64 v[12:13], v[27:28], v[12:13]
	v_fma_f64 v[91:92], v[63:64], s[2:3], v[43:44]
	v_fma_f64 v[43:44], v[63:64], s[6:7], v[43:44]
	v_add_f64 v[0:1], v[0:1], v[77:78]
	v_add_f64 v[77:78], v[49:50], -v[37:38]
	v_add_f64 v[25:26], v[25:26], v[81:82]
	v_fma_f64 v[27:28], v[47:48], s[2:3], v[53:54]
	v_fma_f64 v[53:54], v[47:48], s[6:7], v[53:54]
	;; [unrolled: 1-line block ×7, first 2 shown]
	v_add_f64 v[67:68], v[15:16], -v[37:38]
	v_fma_f64 v[61:62], v[65:66], s[12:13], v[61:62]
	v_fma_f64 v[31:32], v[63:64], s[12:13], v[31:32]
	v_add_f64 v[63:64], v[51:52], -v[15:16]
	v_fma_f64 v[39:40], v[65:66], s[10:11], v[39:40]
	v_add_f64 v[65:66], v[37:38], -v[15:16]
	v_add_f64 v[12:13], v[12:13], v[19:20]
	v_fma_f64 v[85:86], v[59:60], s[12:13], v[91:92]
	v_fma_f64 v[43:44], v[59:60], s[10:11], v[43:44]
	v_add_f64 v[59:60], v[49:50], -v[51:52]
	v_add_f64 v[49:50], v[51:52], -v[49:50]
	v_add_f64 v[51:52], v[69:70], v[51:52]
	v_add_f64 v[91:92], v[33:34], -v[17:18]
	v_fma_f64 v[81:82], v[77:78], s[6:7], v[55:56]
	v_fma_f64 v[55:56], v[77:78], s[2:3], v[55:56]
	v_add_f64 v[69:70], v[17:18], -v[33:34]
	v_add_f64 v[17:18], v[35:36], v[17:18]
	v_add_f64 v[25:26], v[25:26], v[41:42]
	v_fma_f64 v[19:20], v[75:76], s[10:11], v[27:28]
	v_fma_f64 v[27:28], v[75:76], s[12:13], v[53:54]
	;; [unrolled: 1-line block ×12, first 2 shown]
	v_add_f64 v[12:13], v[12:13], v[45:46]
	v_fma_f64 v[85:86], v[0:1], s[14:15], v[85:86]
	v_fma_f64 v[0:1], v[0:1], s[14:15], v[43:44]
	v_add_f64 v[43:44], v[59:60], v[65:66]
	v_add_f64 v[49:50], v[49:50], v[67:68]
	;; [unrolled: 1-line block ×4, first 2 shown]
	v_fma_f64 v[41:42], v[63:64], s[12:13], v[81:82]
	v_fma_f64 v[47:48], v[63:64], s[10:11], v[55:56]
	v_add_f64 v[21:22], v[21:22], v[69:70]
	v_add_f64 v[17:18], v[17:18], v[33:34]
	;; [unrolled: 1-line block ×3, first 2 shown]
	v_mul_f64 v[53:54], v[57:58], s[10:11]
	v_mul_f64 v[67:68], v[89:90], s[12:13]
	;; [unrolled: 1-line block ×4, first 2 shown]
	v_fma_f64 v[51:52], v[77:78], s[12:13], v[73:74]
	v_fma_f64 v[10:11], v[77:78], s[10:11], v[10:11]
	v_mul_f64 v[71:72], v[39:40], s[14:15]
	v_mul_f64 v[73:74], v[29:30], s[0:1]
	;; [unrolled: 1-line block ×4, first 2 shown]
	v_fma_f64 v[45:46], v[43:44], s[14:15], v[27:28]
	v_add_f64 v[15:16], v[15:16], v[37:38]
	v_fma_f64 v[37:38], v[43:44], s[14:15], v[19:20]
	v_fma_f64 v[43:44], v[49:50], s[14:15], v[35:36]
	;; [unrolled: 1-line block ×10, first 2 shown]
	v_fma_f64 v[53:54], v[29:30], s[10:11], -v[65:66]
	v_add_f64 v[10:11], v[17:18], v[12:13]
	v_add_f64 v[17:18], v[17:18], -v[12:13]
	v_fma_f64 v[47:48], v[39:40], s[2:3], -v[63:64]
	v_fma_f64 v[57:58], v[61:62], s[14:15], v[69:70]
	v_fma_f64 v[61:62], v[85:86], s[6:7], -v[71:72]
	v_fma_f64 v[63:64], v[31:32], s[12:13], -v[73:74]
	v_add_f64 v[8:9], v[15:16], v[23:24]
	v_add_f64 v[15:16], v[15:16], -v[23:24]
	v_add_f64 v[19:20], v[37:38], v[35:36]
	v_add_f64 v[35:36], v[37:38], -v[35:36]
	v_add_f64 v[23:24], v[43:44], v[0:1]
	v_add_f64 v[21:22], v[41:42], v[55:56]
	v_add_f64 v[37:38], v[41:42], -v[55:56]
	v_add_f64 v[39:40], v[43:44], -v[0:1]
	v_add_f64 v[31:32], v[45:46], v[53:54]
	v_dual_mov_b32 v1, 0 :: v_dual_lshlrev_b32 v0, 2, v4
	v_add_f64 v[27:28], v[49:50], v[47:48]
	v_add_f64 v[25:26], v[51:52], v[57:58]
	;; [unrolled: 1-line block ×4, first 2 shown]
	v_add_f64 v[41:42], v[51:52], -v[57:58]
	v_add_f64 v[43:44], v[49:50], -v[47:48]
	;; [unrolled: 1-line block ×5, first 2 shown]
	v_lshlrev_b64 v[12:13], 4, v[0:1]
	v_mul_u32_u24_e32 v0, 0x1f40, v3
	v_lshlrev_b32_e32 v3, 4, v5
	s_delay_alu instid0(VALU_DEP_3) | instskip(NEXT) | instid1(VALU_DEP_1)
	v_add_co_u32 v5, s0, s4, v12
	v_add_co_ci_u32_e64 v51, s0, s5, v13, s0
	s_delay_alu instid0(VALU_DEP_3) | instskip(NEXT) | instid1(VALU_DEP_3)
	v_add3_u32 v0, 0, v0, v3
	v_add_co_u32 v12, s0, 0x1000, v5
	s_delay_alu instid0(VALU_DEP_1)
	v_add_co_ci_u32_e64 v13, s0, 0, v51, s0
	ds_store_b128 v0, v[8:11]
	ds_store_b128 v0, v[19:22] offset:800
	ds_store_b128 v0, v[23:26] offset:1600
	;; [unrolled: 1-line block ×9, first 2 shown]
	s_waitcnt lgkmcnt(0)
	s_barrier
	buffer_gl0_inv
	global_load_b128 v[8:11], v[12:13], off offset:3744
	v_add_co_u32 v12, s0, 0x1ea0, v5
	s_delay_alu instid0(VALU_DEP_1)
	v_add_co_ci_u32_e64 v13, s0, 0, v51, s0
	v_lshlrev_b32_e32 v0, 2, v2
	s_clause 0x1
	global_load_b128 v[15:18], v[12:13], off offset:16
	global_load_b128 v[19:22], v[12:13], off offset:32
	v_lshlrev_b64 v[2:3], 4, v[0:1]
	global_load_b128 v[23:26], v[12:13], off offset:48
	v_add_co_u32 v0, s0, s4, v2
	s_delay_alu instid0(VALU_DEP_1) | instskip(NEXT) | instid1(VALU_DEP_2)
	v_add_co_ci_u32_e64 v5, s0, s5, v3, s0
	v_add_co_u32 v2, s0, 0x1000, v0
	s_delay_alu instid0(VALU_DEP_1) | instskip(SKIP_1) | instid1(VALU_DEP_1)
	v_add_co_ci_u32_e64 v3, s0, 0, v5, s0
	v_add_co_u32 v12, s0, 0x1ea0, v0
	v_add_co_ci_u32_e64 v13, s0, 0, v5, s0
	s_clause 0x3
	global_load_b128 v[27:30], v[2:3], off offset:3744
	global_load_b128 v[31:34], v[12:13], off offset:16
	;; [unrolled: 1-line block ×4, first 2 shown]
	ds_load_b128 v[43:46], v14 offset:8000
	ds_load_b128 v[47:50], v14 offset:16000
	;; [unrolled: 1-line block ×3, first 2 shown]
	s_waitcnt vmcnt(7) lgkmcnt(2)
	v_mul_f64 v[2:3], v[45:46], v[10:11]
	v_mul_f64 v[75:76], v[43:44], v[10:11]
	ds_load_b128 v[10:13], v14 offset:12000
	ds_load_b128 v[55:58], v14 offset:24000
	;; [unrolled: 1-line block ×6, first 2 shown]
	s_waitcnt vmcnt(6) lgkmcnt(7)
	v_mul_f64 v[77:78], v[49:50], v[17:18]
	v_mul_f64 v[17:18], v[47:48], v[17:18]
	s_waitcnt vmcnt(5) lgkmcnt(4)
	v_mul_f64 v[79:80], v[57:58], v[21:22]
	v_mul_f64 v[21:22], v[55:56], v[21:22]
	;; [unrolled: 3-line block ×3, first 2 shown]
	s_waitcnt vmcnt(3)
	v_mul_f64 v[83:84], v[12:13], v[29:30]
	v_fma_f64 v[2:3], v[43:44], v[8:9], -v[2:3]
	v_fma_f64 v[43:44], v[45:46], v[8:9], v[75:76]
	v_mul_f64 v[8:9], v[10:11], v[29:30]
	s_waitcnt vmcnt(2) lgkmcnt(2)
	v_mul_f64 v[29:30], v[65:66], v[33:34]
	v_mul_f64 v[33:34], v[63:64], v[33:34]
	s_waitcnt vmcnt(1) lgkmcnt(1)
	v_mul_f64 v[45:46], v[69:70], v[37:38]
	v_mul_f64 v[37:38], v[67:68], v[37:38]
	v_fma_f64 v[47:48], v[47:48], v[15:16], -v[77:78]
	v_fma_f64 v[15:16], v[49:50], v[15:16], v[17:18]
	s_waitcnt vmcnt(0) lgkmcnt(0)
	v_mul_f64 v[17:18], v[73:74], v[41:42]
	v_mul_f64 v[41:42], v[71:72], v[41:42]
	v_fma_f64 v[49:50], v[55:56], v[19:20], -v[79:80]
	v_fma_f64 v[19:20], v[57:58], v[19:20], v[21:22]
	v_fma_f64 v[21:22], v[59:60], v[23:24], -v[81:82]
	v_fma_f64 v[23:24], v[61:62], v[23:24], v[25:26]
	;; [unrolled: 2-line block ×5, first 2 shown]
	ds_load_b128 v[8:11], v14
	v_add_f64 v[63:64], v[2:3], -v[47:48]
	v_add_f64 v[69:70], v[47:48], -v[2:3]
	v_fma_f64 v[17:18], v[71:72], v[39:40], -v[17:18]
	v_fma_f64 v[35:36], v[73:74], v[39:40], v[41:42]
	v_add_f64 v[75:76], v[43:44], -v[15:16]
	v_add_f64 v[79:80], v[15:16], -v[43:44]
	s_waitcnt lgkmcnt(0)
	s_barrier
	buffer_gl0_inv
	v_add_f64 v[37:38], v[47:48], v[49:50]
	v_add_f64 v[41:42], v[15:16], v[19:20]
	;; [unrolled: 1-line block ×4, first 2 shown]
	v_add_f64 v[65:66], v[21:22], -v[49:50]
	v_add_f64 v[71:72], v[49:50], -v[21:22]
	;; [unrolled: 1-line block ×4, first 2 shown]
	v_add_f64 v[67:68], v[8:9], v[2:3]
	v_add_f64 v[73:74], v[10:11], v[43:44]
	;; [unrolled: 1-line block ×3, first 2 shown]
	v_add_f64 v[43:44], v[43:44], -v[23:24]
	v_add_f64 v[2:3], v[2:3], -v[21:22]
	;; [unrolled: 1-line block ×4, first 2 shown]
	v_add_f64 v[55:56], v[27:28], v[31:32]
	v_add_f64 v[59:60], v[29:30], v[33:34]
	;; [unrolled: 1-line block ×4, first 2 shown]
	v_add_f64 v[87:88], v[17:18], -v[31:32]
	v_add_f64 v[25:26], v[25:26], -v[17:18]
	v_add_f64 v[91:92], v[31:32], -v[17:18]
	v_fma_f64 v[37:38], v[37:38], -0.5, v[8:9]
	v_fma_f64 v[8:9], v[39:40], -0.5, v[8:9]
	;; [unrolled: 1-line block ×4, first 2 shown]
	v_add_f64 v[41:42], v[53:54], v[12:13]
	v_add_f64 v[45:46], v[12:13], -v[29:30]
	v_add_f64 v[63:64], v[63:64], v[65:66]
	v_add_f64 v[65:66], v[33:34], -v[35:36]
	v_add_f64 v[67:68], v[67:68], v[47:48]
	v_add_f64 v[69:70], v[69:70], v[71:72]
	v_add_f64 v[71:72], v[15:16], -v[19:20]
	v_add_f64 v[47:48], v[47:48], -v[49:50]
	v_add_f64 v[15:16], v[73:74], v[15:16]
	v_add_f64 v[73:74], v[29:30], -v[33:34]
	v_add_f64 v[75:76], v[75:76], v[77:78]
	;; [unrolled: 2-line block ×3, first 2 shown]
	v_add_f64 v[79:80], v[79:80], v[81:82]
	v_fma_f64 v[55:56], v[55:56], -0.5, v[51:52]
	v_fma_f64 v[51:52], v[57:58], -0.5, v[51:52]
	;; [unrolled: 1-line block ×4, first 2 shown]
	v_add_f64 v[59:60], v[35:36], -v[33:34]
	v_add_f64 v[61:62], v[29:30], -v[12:13]
	;; [unrolled: 1-line block ×3, first 2 shown]
	v_add_f64 v[81:82], v[85:86], v[87:88]
	v_add_f64 v[83:84], v[89:90], v[91:92]
	;; [unrolled: 1-line block ×4, first 2 shown]
	v_fma_f64 v[49:50], v[43:44], s[2:3], v[37:38]
	v_fma_f64 v[37:38], v[43:44], s[6:7], v[37:38]
	v_fma_f64 v[67:68], v[47:48], s[2:3], v[10:11]
	v_fma_f64 v[10:11], v[47:48], s[6:7], v[10:11]
	v_add_f64 v[15:16], v[15:16], v[19:20]
	v_add_f64 v[19:20], v[27:28], v[31:32]
	v_fma_f64 v[89:90], v[73:74], s[6:7], v[51:52]
	v_fma_f64 v[87:88], v[25:26], s[6:7], v[57:58]
	;; [unrolled: 1-line block ×3, first 2 shown]
	v_add_f64 v[59:60], v[45:46], v[59:60]
	v_add_f64 v[45:46], v[61:62], v[65:66]
	v_fma_f64 v[61:62], v[71:72], s[6:7], v[8:9]
	v_fma_f64 v[8:9], v[71:72], s[2:3], v[8:9]
	;; [unrolled: 1-line block ×9, first 2 shown]
	v_add_f64 v[27:28], v[29:30], v[33:34]
	v_fma_f64 v[29:30], v[71:72], s[10:11], v[49:50]
	v_fma_f64 v[31:32], v[71:72], s[12:13], v[37:38]
	;; [unrolled: 1-line block ×16, first 2 shown]
	v_add_f64 v[8:9], v[41:42], v[21:22]
	v_add_f64 v[10:11], v[15:16], v[23:24]
	;; [unrolled: 1-line block ×3, first 2 shown]
	v_fma_f64 v[19:20], v[63:64], s[14:15], v[29:30]
	v_add_f64 v[17:18], v[27:28], v[35:36]
	v_fma_f64 v[23:24], v[63:64], s[14:15], v[31:32]
	v_fma_f64 v[27:28], v[69:70], s[14:15], v[33:34]
	;; [unrolled: 1-line block ×15, first 2 shown]
	ds_store_b128 v14, v[19:22] offset:8000
	ds_store_b128 v14, v[15:18] offset:4000
	;; [unrolled: 1-line block ×8, first 2 shown]
	ds_store_b128 v14, v[8:11]
	ds_store_b128 v14, v[47:50] offset:36000
	s_waitcnt lgkmcnt(0)
	s_barrier
	buffer_gl0_inv
	s_and_saveexec_b32 s0, vcc_lo
	s_cbranch_execz .LBB0_19
; %bb.18:
	v_lshl_add_u32 v36, v4, 4, 0
	v_dual_mov_b32 v5, v1 :: v_dual_add_nc_u32 v0, 0xfa, v4
	v_add_co_u32 v38, vcc_lo, s8, v6
	ds_load_b128 v[8:11], v36
	v_lshlrev_b64 v[2:3], 4, v[4:5]
	v_lshlrev_b64 v[5:6], 4, v[0:1]
	v_add_nc_u32_e32 v0, 0x1f4, v4
	ds_load_b128 v[12:15], v36 offset:4000
	ds_load_b128 v[16:19], v36 offset:8000
	v_add_co_ci_u32_e32 v39, vcc_lo, s9, v7, vcc_lo
	ds_load_b128 v[20:23], v36 offset:12000
	v_lshlrev_b64 v[24:25], 4, v[0:1]
	v_add_nc_u32_e32 v0, 0x2ee, v4
	v_add_co_u32 v2, vcc_lo, v38, v2
	v_add_co_ci_u32_e32 v3, vcc_lo, v39, v3, vcc_lo
	s_delay_alu instid0(VALU_DEP_3) | instskip(SKIP_4) | instid1(VALU_DEP_4)
	v_lshlrev_b64 v[26:27], 4, v[0:1]
	v_add_nc_u32_e32 v0, 0x3e8, v4
	v_add_co_u32 v5, vcc_lo, v38, v5
	v_add_co_ci_u32_e32 v6, vcc_lo, v39, v6, vcc_lo
	v_add_co_u32 v28, vcc_lo, v38, v24
	v_lshlrev_b64 v[32:33], 4, v[0:1]
	v_add_nc_u32_e32 v0, 0x4e2, v4
	v_add_co_ci_u32_e32 v29, vcc_lo, v39, v25, vcc_lo
	v_add_co_u32 v30, vcc_lo, v38, v26
	v_add_co_ci_u32_e32 v31, vcc_lo, v39, v27, vcc_lo
	ds_load_b128 v[24:27], v36 offset:36000
	s_waitcnt lgkmcnt(4)
	global_store_b128 v[2:3], v[8:11], off
	s_waitcnt lgkmcnt(3)
	global_store_b128 v[5:6], v[12:15], off
	v_lshlrev_b64 v[2:3], 4, v[0:1]
	v_add_nc_u32_e32 v0, 0x5dc, v4
	ds_load_b128 v[5:8], v36 offset:16000
	s_waitcnt lgkmcnt(3)
	global_store_b128 v[28:29], v[16:19], off
	s_waitcnt lgkmcnt(2)
	global_store_b128 v[30:31], v[20:23], off
	v_add_co_u32 v21, vcc_lo, v38, v32
	v_lshlrev_b64 v[17:18], 4, v[0:1]
	v_add_co_ci_u32_e32 v22, vcc_lo, v39, v33, vcc_lo
	v_add_co_u32 v2, vcc_lo, v38, v2
	v_add_nc_u32_e32 v0, 0x6d6, v4
	v_add_co_ci_u32_e32 v3, vcc_lo, v39, v3, vcc_lo
	v_add_co_u32 v34, vcc_lo, v38, v17
	ds_load_b128 v[9:12], v36 offset:20000
	ds_load_b128 v[13:16], v36 offset:24000
	v_add_co_ci_u32_e32 v35, vcc_lo, v39, v18, vcc_lo
	ds_load_b128 v[17:20], v36 offset:28000
	ds_load_b128 v[28:31], v36 offset:32000
	v_lshlrev_b64 v[32:33], 4, v[0:1]
	v_add_nc_u32_e32 v0, 0x7d0, v4
	s_delay_alu instid0(VALU_DEP_1) | instskip(SKIP_1) | instid1(VALU_DEP_4)
	v_lshlrev_b64 v[36:37], 4, v[0:1]
	v_add_nc_u32_e32 v0, 0x8ca, v4
	v_add_co_u32 v32, vcc_lo, v38, v32
	v_add_co_ci_u32_e32 v33, vcc_lo, v39, v33, vcc_lo
	s_delay_alu instid0(VALU_DEP_3) | instskip(SKIP_2) | instid1(VALU_DEP_3)
	v_lshlrev_b64 v[0:1], 4, v[0:1]
	v_add_co_u32 v36, vcc_lo, v38, v36
	v_add_co_ci_u32_e32 v37, vcc_lo, v39, v37, vcc_lo
	v_add_co_u32 v0, vcc_lo, v38, v0
	s_delay_alu instid0(VALU_DEP_4)
	v_add_co_ci_u32_e32 v1, vcc_lo, v39, v1, vcc_lo
	s_waitcnt lgkmcnt(4)
	global_store_b128 v[21:22], v[5:8], off
	s_waitcnt lgkmcnt(3)
	global_store_b128 v[2:3], v[9:12], off
	s_waitcnt lgkmcnt(2)
	global_store_b128 v[34:35], v[13:16], off
	s_waitcnt lgkmcnt(1)
	global_store_b128 v[32:33], v[17:20], off
	s_waitcnt lgkmcnt(0)
	s_clause 0x1
	global_store_b128 v[36:37], v[28:31], off
	global_store_b128 v[0:1], v[24:27], off
.LBB0_19:
	s_nop 0
	s_sendmsg sendmsg(MSG_DEALLOC_VGPRS)
	s_endpgm
	.section	.rodata,"a",@progbits
	.p2align	6, 0x0
	.amdhsa_kernel fft_rtc_fwd_len2500_factors_10_5_10_5_wgs_250_tpt_250_halfLds_dp_ip_CI_unitstride_sbrr_C2R_dirReg
		.amdhsa_group_segment_fixed_size 0
		.amdhsa_private_segment_fixed_size 0
		.amdhsa_kernarg_size 88
		.amdhsa_user_sgpr_count 15
		.amdhsa_user_sgpr_dispatch_ptr 0
		.amdhsa_user_sgpr_queue_ptr 0
		.amdhsa_user_sgpr_kernarg_segment_ptr 1
		.amdhsa_user_sgpr_dispatch_id 0
		.amdhsa_user_sgpr_private_segment_size 0
		.amdhsa_wavefront_size32 1
		.amdhsa_uses_dynamic_stack 0
		.amdhsa_enable_private_segment 0
		.amdhsa_system_sgpr_workgroup_id_x 1
		.amdhsa_system_sgpr_workgroup_id_y 0
		.amdhsa_system_sgpr_workgroup_id_z 0
		.amdhsa_system_sgpr_workgroup_info 0
		.amdhsa_system_vgpr_workitem_id 0
		.amdhsa_next_free_vgpr 93
		.amdhsa_next_free_sgpr 21
		.amdhsa_reserve_vcc 1
		.amdhsa_float_round_mode_32 0
		.amdhsa_float_round_mode_16_64 0
		.amdhsa_float_denorm_mode_32 3
		.amdhsa_float_denorm_mode_16_64 3
		.amdhsa_dx10_clamp 1
		.amdhsa_ieee_mode 1
		.amdhsa_fp16_overflow 0
		.amdhsa_workgroup_processor_mode 1
		.amdhsa_memory_ordered 1
		.amdhsa_forward_progress 0
		.amdhsa_shared_vgpr_count 0
		.amdhsa_exception_fp_ieee_invalid_op 0
		.amdhsa_exception_fp_denorm_src 0
		.amdhsa_exception_fp_ieee_div_zero 0
		.amdhsa_exception_fp_ieee_overflow 0
		.amdhsa_exception_fp_ieee_underflow 0
		.amdhsa_exception_fp_ieee_inexact 0
		.amdhsa_exception_int_div_zero 0
	.end_amdhsa_kernel
	.text
.Lfunc_end0:
	.size	fft_rtc_fwd_len2500_factors_10_5_10_5_wgs_250_tpt_250_halfLds_dp_ip_CI_unitstride_sbrr_C2R_dirReg, .Lfunc_end0-fft_rtc_fwd_len2500_factors_10_5_10_5_wgs_250_tpt_250_halfLds_dp_ip_CI_unitstride_sbrr_C2R_dirReg
                                        ; -- End function
	.section	.AMDGPU.csdata,"",@progbits
; Kernel info:
; codeLenInByte = 10096
; NumSgprs: 23
; NumVgprs: 93
; ScratchSize: 0
; MemoryBound: 0
; FloatMode: 240
; IeeeMode: 1
; LDSByteSize: 0 bytes/workgroup (compile time only)
; SGPRBlocks: 2
; VGPRBlocks: 11
; NumSGPRsForWavesPerEU: 23
; NumVGPRsForWavesPerEU: 93
; Occupancy: 16
; WaveLimiterHint : 1
; COMPUTE_PGM_RSRC2:SCRATCH_EN: 0
; COMPUTE_PGM_RSRC2:USER_SGPR: 15
; COMPUTE_PGM_RSRC2:TRAP_HANDLER: 0
; COMPUTE_PGM_RSRC2:TGID_X_EN: 1
; COMPUTE_PGM_RSRC2:TGID_Y_EN: 0
; COMPUTE_PGM_RSRC2:TGID_Z_EN: 0
; COMPUTE_PGM_RSRC2:TIDIG_COMP_CNT: 0
	.text
	.p2alignl 7, 3214868480
	.fill 96, 4, 3214868480
	.type	__hip_cuid_fcd0d60880853a38,@object ; @__hip_cuid_fcd0d60880853a38
	.section	.bss,"aw",@nobits
	.globl	__hip_cuid_fcd0d60880853a38
__hip_cuid_fcd0d60880853a38:
	.byte	0                               ; 0x0
	.size	__hip_cuid_fcd0d60880853a38, 1

	.ident	"AMD clang version 19.0.0git (https://github.com/RadeonOpenCompute/llvm-project roc-6.4.0 25133 c7fe45cf4b819c5991fe208aaa96edf142730f1d)"
	.section	".note.GNU-stack","",@progbits
	.addrsig
	.addrsig_sym __hip_cuid_fcd0d60880853a38
	.amdgpu_metadata
---
amdhsa.kernels:
  - .args:
      - .actual_access:  read_only
        .address_space:  global
        .offset:         0
        .size:           8
        .value_kind:     global_buffer
      - .offset:         8
        .size:           8
        .value_kind:     by_value
      - .actual_access:  read_only
        .address_space:  global
        .offset:         16
        .size:           8
        .value_kind:     global_buffer
      - .actual_access:  read_only
        .address_space:  global
        .offset:         24
        .size:           8
        .value_kind:     global_buffer
      - .offset:         32
        .size:           8
        .value_kind:     by_value
      - .actual_access:  read_only
        .address_space:  global
        .offset:         40
        .size:           8
        .value_kind:     global_buffer
      - .actual_access:  read_only
        .address_space:  global
        .offset:         48
        .size:           8
        .value_kind:     global_buffer
      - .offset:         56
        .size:           4
        .value_kind:     by_value
      - .actual_access:  read_only
        .address_space:  global
        .offset:         64
        .size:           8
        .value_kind:     global_buffer
      - .actual_access:  read_only
        .address_space:  global
        .offset:         72
        .size:           8
        .value_kind:     global_buffer
      - .address_space:  global
        .offset:         80
        .size:           8
        .value_kind:     global_buffer
    .group_segment_fixed_size: 0
    .kernarg_segment_align: 8
    .kernarg_segment_size: 88
    .language:       OpenCL C
    .language_version:
      - 2
      - 0
    .max_flat_workgroup_size: 250
    .name:           fft_rtc_fwd_len2500_factors_10_5_10_5_wgs_250_tpt_250_halfLds_dp_ip_CI_unitstride_sbrr_C2R_dirReg
    .private_segment_fixed_size: 0
    .sgpr_count:     23
    .sgpr_spill_count: 0
    .symbol:         fft_rtc_fwd_len2500_factors_10_5_10_5_wgs_250_tpt_250_halfLds_dp_ip_CI_unitstride_sbrr_C2R_dirReg.kd
    .uniform_work_group_size: 1
    .uses_dynamic_stack: false
    .vgpr_count:     93
    .vgpr_spill_count: 0
    .wavefront_size: 32
    .workgroup_processor_mode: 1
amdhsa.target:   amdgcn-amd-amdhsa--gfx1100
amdhsa.version:
  - 1
  - 2
...

	.end_amdgpu_metadata
